;; amdgpu-corpus repo=ROCm/rocFFT kind=compiled arch=gfx906 opt=O3
	.text
	.amdgcn_target "amdgcn-amd-amdhsa--gfx906"
	.amdhsa_code_object_version 6
	.protected	bluestein_single_back_len600_dim1_sp_op_CI_CI ; -- Begin function bluestein_single_back_len600_dim1_sp_op_CI_CI
	.globl	bluestein_single_back_len600_dim1_sp_op_CI_CI
	.p2align	8
	.type	bluestein_single_back_len600_dim1_sp_op_CI_CI,@function
bluestein_single_back_len600_dim1_sp_op_CI_CI: ; @bluestein_single_back_len600_dim1_sp_op_CI_CI
; %bb.0:
	s_load_dwordx4 s[16:19], s[4:5], 0x28
	v_mul_u32_u24_e32 v1, 0x445, v0
	v_add_u32_sdwa v56, s6, v1 dst_sel:DWORD dst_unused:UNUSED_PAD src0_sel:DWORD src1_sel:WORD_1
	v_mov_b32_e32 v57, 0
	s_waitcnt lgkmcnt(0)
	v_cmp_gt_u64_e32 vcc, s[16:17], v[56:57]
	s_and_saveexec_b64 s[0:1], vcc
	s_cbranch_execz .LBB0_10
; %bb.1:
	s_load_dwordx4 s[0:3], s[4:5], 0x18
	s_load_dwordx4 s[12:15], s[4:5], 0x0
	v_mov_b32_e32 v2, 60
	v_mul_lo_u16_sdwa v1, v1, v2 dst_sel:DWORD dst_unused:UNUSED_PAD src0_sel:WORD_1 src1_sel:DWORD
	v_sub_u16_e32 v84, v0, v1
	s_waitcnt lgkmcnt(0)
	s_load_dwordx4 s[8:11], s[0:1], 0x0
	v_lshlrev_b32_e32 v83, 3, v84
                                        ; implicit-def: $vgpr36
	s_waitcnt lgkmcnt(0)
	v_mad_u64_u32 v[0:1], s[0:1], s10, v56, 0
	v_mad_u64_u32 v[2:3], s[0:1], s8, v84, 0
	s_mul_i32 s6, s9, 0x1e0
	s_mul_hi_u32 s7, s8, 0x1e0
	v_mad_u64_u32 v[4:5], s[0:1], s11, v56, v[1:2]
	s_add_i32 s6, s7, s6
	s_mul_i32 s7, s8, 0x1e0
	v_mad_u64_u32 v[5:6], s[0:1], s9, v84, v[3:4]
	v_mov_b32_e32 v1, v4
	v_lshlrev_b64 v[0:1], 3, v[0:1]
	v_mov_b32_e32 v6, s19
	v_mov_b32_e32 v3, v5
	v_add_co_u32_e32 v4, vcc, s18, v0
	v_addc_co_u32_e32 v5, vcc, v6, v1, vcc
	v_lshlrev_b64 v[0:1], 3, v[2:3]
	v_mov_b32_e32 v2, s13
	v_add_co_u32_e32 v0, vcc, v4, v0
	v_add_co_u32_e64 v40, s[0:1], s12, v83
	v_addc_co_u32_e32 v1, vcc, v5, v1, vcc
	v_addc_co_u32_e64 v22, vcc, 0, v2, s[0:1]
	v_mov_b32_e32 v3, s6
	v_add_co_u32_e32 v2, vcc, s7, v0
	v_addc_co_u32_e32 v3, vcc, v1, v3, vcc
	v_mov_b32_e32 v5, s6
	v_add_co_u32_e32 v4, vcc, s7, v2
	v_addc_co_u32_e32 v5, vcc, v3, v5, vcc
	;; [unrolled: 3-line block ×3, first 2 shown]
	global_load_dwordx2 v[8:9], v[0:1], off
	global_load_dwordx2 v[10:11], v[2:3], off
	;; [unrolled: 1-line block ×4, first 2 shown]
	global_load_dwordx2 v[75:76], v83, s[12:13]
	global_load_dwordx2 v[73:74], v83, s[12:13] offset:480
	global_load_dwordx2 v[69:70], v83, s[12:13] offset:960
	;; [unrolled: 1-line block ×3, first 2 shown]
	v_mov_b32_e32 v1, s6
	v_add_co_u32_e32 v0, vcc, s7, v6
	v_addc_co_u32_e32 v1, vcc, v7, v1, vcc
	global_load_dwordx2 v[2:3], v[0:1], off
	global_load_dwordx2 v[63:64], v83, s[12:13] offset:1920
	v_mov_b32_e32 v4, s6
	v_add_co_u32_e32 v0, vcc, s7, v0
	v_addc_co_u32_e32 v1, vcc, v1, v4, vcc
	global_load_dwordx2 v[4:5], v[0:1], off
	v_mov_b32_e32 v6, s6
	v_add_co_u32_e32 v0, vcc, s7, v0
	v_addc_co_u32_e32 v1, vcc, v1, v6, vcc
	global_load_dwordx2 v[6:7], v[0:1], off
	;; [unrolled: 4-line block ×3, first 2 shown]
	global_load_dwordx2 v[71:72], v83, s[12:13] offset:2400
	global_load_dwordx2 v[67:68], v83, s[12:13] offset:2880
	;; [unrolled: 1-line block ×3, first 2 shown]
	v_mov_b32_e32 v18, s6
	v_add_co_u32_e32 v0, vcc, s7, v0
	v_addc_co_u32_e32 v1, vcc, v1, v18, vcc
	global_load_dwordx2 v[18:19], v[0:1], off
	global_load_dwordx2 v[57:58], v83, s[12:13] offset:3840
	v_mov_b32_e32 v20, s6
	v_add_co_u32_e32 v0, vcc, s7, v0
	v_addc_co_u32_e32 v1, vcc, v1, v20, vcc
	s_movk_i32 s6, 0x1000
	global_load_dwordx2 v[20:21], v[0:1], off
	v_add_co_u32_e32 v0, vcc, s6, v40
	v_addc_co_u32_e32 v1, vcc, 0, v22, vcc
	global_load_dwordx2 v[59:60], v[0:1], off offset:224
	s_load_dwordx4 s[8:11], s[2:3], 0x0
	s_mov_b32 s6, 0x3f737871
	s_load_dwordx2 s[2:3], s[4:5], 0x38
	s_mov_b32 s7, 0x3f167918
	s_mov_b32 s5, 0xbf737871
	s_mov_b32 s4, 0xbf167918
	v_cmp_gt_u16_e32 vcc, 40, v84
	s_waitcnt vmcnt(15)
	v_mul_f32_e32 v0, v9, v76
	v_mul_f32_e32 v1, v8, v76
	v_fmac_f32_e32 v0, v8, v75
	v_fma_f32 v1, v9, v75, -v1
	s_waitcnt vmcnt(14)
	v_mul_f32_e32 v8, v11, v74
	v_mul_f32_e32 v9, v10, v74
	v_fmac_f32_e32 v8, v10, v73
	v_fma_f32 v9, v11, v73, -v9
	ds_write2_b64 v83, v[0:1], v[8:9] offset1:60
	s_waitcnt vmcnt(13)
	v_mul_f32_e32 v0, v13, v70
	v_mul_f32_e32 v1, v12, v70
	s_waitcnt vmcnt(12)
	v_mul_f32_e32 v8, v15, v66
	v_mul_f32_e32 v9, v14, v66
	v_fmac_f32_e32 v0, v12, v69
	v_fma_f32 v1, v13, v69, -v1
	v_fmac_f32_e32 v8, v14, v65
	v_fma_f32 v9, v15, v65, -v9
	ds_write2_b64 v83, v[0:1], v[8:9] offset0:120 offset1:180
	s_waitcnt vmcnt(10)
	v_mul_f32_e32 v8, v3, v64
	v_mul_f32_e32 v0, v2, v64
	v_fmac_f32_e32 v8, v2, v63
	v_fma_f32 v9, v3, v63, -v0
	v_add_u32_e32 v1, 0x400, v83
	s_waitcnt vmcnt(6)
	v_mul_f32_e32 v2, v5, v72
	v_mul_f32_e32 v0, v4, v72
	v_fmac_f32_e32 v2, v4, v71
	v_fma_f32 v3, v5, v71, -v0
	s_waitcnt vmcnt(5)
	v_mul_f32_e32 v0, v6, v68
	ds_write2_b64 v1, v[8:9], v[2:3] offset0:112 offset1:172
	v_mul_f32_e32 v2, v7, v68
	v_fma_f32 v3, v7, v67, -v0
	s_waitcnt vmcnt(4)
	v_mul_f32_e32 v4, v17, v62
	v_mul_f32_e32 v0, v16, v62
	v_fmac_f32_e32 v2, v6, v67
	v_fmac_f32_e32 v4, v16, v61
	v_fma_f32 v5, v17, v61, -v0
	v_add_u32_e32 v0, 0x800, v83
	ds_write2_b64 v0, v[2:3], v[4:5] offset0:104 offset1:164
	s_waitcnt vmcnt(2)
	v_mul_f32_e32 v2, v18, v58
	v_mul_f32_e32 v3, v19, v58
	v_fma_f32 v4, v19, v57, -v2
	v_fmac_f32_e32 v3, v18, v57
	s_waitcnt vmcnt(0)
	v_mul_f32_e32 v5, v21, v60
	v_mul_f32_e32 v2, v20, v60
	v_fmac_f32_e32 v5, v20, v59
	v_fma_f32 v6, v21, v59, -v2
	v_add_u32_e32 v2, 0xc00, v83
	ds_write2_b64 v2, v[3:4], v[5:6] offset0:96 offset1:156
	s_waitcnt lgkmcnt(0)
	; wave barrier
	s_waitcnt lgkmcnt(0)
	ds_read2_b64 v[3:6], v83 offset1:60
	ds_read2_b64 v[7:10], v83 offset0:120 offset1:180
	ds_read2_b64 v[11:14], v1 offset0:112 offset1:172
	;; [unrolled: 1-line block ×4, first 2 shown]
	s_waitcnt lgkmcnt(0)
	v_add_f32_e32 v23, v3, v7
	v_sub_f32_e32 v28, v7, v11
	v_add_f32_e32 v24, v11, v15
	v_fma_f32 v25, -0.5, v24, v3
	v_sub_f32_e32 v24, v8, v20
	v_mov_b32_e32 v26, v25
	v_fmac_f32_e32 v26, 0x3f737871, v24
	v_sub_f32_e32 v27, v12, v16
	v_sub_f32_e32 v29, v19, v15
	v_fmac_f32_e32 v25, 0xbf737871, v24
	v_fmac_f32_e32 v26, 0x3f167918, v27
	v_add_f32_e32 v28, v28, v29
	v_fmac_f32_e32 v25, 0xbf167918, v27
	v_fmac_f32_e32 v26, 0x3e9e377a, v28
	;; [unrolled: 1-line block ×3, first 2 shown]
	v_add_f32_e32 v28, v7, v19
	v_fma_f32 v28, -0.5, v28, v3
	v_mov_b32_e32 v29, v28
	v_fmac_f32_e32 v29, 0xbf737871, v27
	v_sub_f32_e32 v3, v11, v7
	v_sub_f32_e32 v30, v15, v19
	v_fmac_f32_e32 v28, 0x3f737871, v27
	v_fmac_f32_e32 v29, 0x3f167918, v24
	v_add_f32_e32 v3, v3, v30
	v_fmac_f32_e32 v28, 0xbf167918, v24
	v_fmac_f32_e32 v29, 0x3e9e377a, v3
	;; [unrolled: 1-line block ×3, first 2 shown]
	v_add_f32_e32 v3, v4, v8
	v_add_f32_e32 v3, v3, v12
	;; [unrolled: 1-line block ×7, first 2 shown]
	v_fma_f32 v30, -0.5, v3, v4
	v_add_f32_e32 v23, v23, v19
	v_sub_f32_e32 v3, v7, v19
	v_mov_b32_e32 v19, v30
	v_fmac_f32_e32 v19, 0xbf737871, v3
	v_sub_f32_e32 v7, v11, v15
	v_sub_f32_e32 v11, v8, v12
	;; [unrolled: 1-line block ×3, first 2 shown]
	v_fmac_f32_e32 v30, 0x3f737871, v3
	v_fmac_f32_e32 v19, 0xbf167918, v7
	v_add_f32_e32 v11, v11, v15
	v_fmac_f32_e32 v30, 0x3f167918, v7
	v_fmac_f32_e32 v19, 0x3e9e377a, v11
	;; [unrolled: 1-line block ×3, first 2 shown]
	v_add_f32_e32 v11, v8, v20
	v_fma_f32 v15, -0.5, v11, v4
	v_mov_b32_e32 v31, v15
	v_fmac_f32_e32 v31, 0x3f737871, v7
	v_fmac_f32_e32 v15, 0xbf737871, v7
	;; [unrolled: 1-line block ×4, first 2 shown]
	v_add_f32_e32 v3, v5, v9
	v_add_f32_e32 v3, v3, v13
	;; [unrolled: 1-line block ×3, first 2 shown]
	v_sub_f32_e32 v4, v12, v8
	v_sub_f32_e32 v8, v16, v20
	v_add_f32_e32 v16, v3, v21
	v_add_f32_e32 v3, v13, v17
	;; [unrolled: 1-line block ×3, first 2 shown]
	v_fma_f32 v12, -0.5, v3, v5
	v_fmac_f32_e32 v31, 0x3e9e377a, v4
	v_fmac_f32_e32 v15, 0x3e9e377a, v4
	v_sub_f32_e32 v3, v10, v22
	v_mov_b32_e32 v4, v12
	v_fmac_f32_e32 v4, 0x3f737871, v3
	v_sub_f32_e32 v7, v14, v18
	v_sub_f32_e32 v8, v9, v13
	;; [unrolled: 1-line block ×3, first 2 shown]
	v_fmac_f32_e32 v12, 0xbf737871, v3
	v_fmac_f32_e32 v4, 0x3f167918, v7
	v_add_f32_e32 v8, v8, v11
	v_fmac_f32_e32 v12, 0xbf167918, v7
	v_fmac_f32_e32 v4, 0x3e9e377a, v8
	v_fmac_f32_e32 v12, 0x3e9e377a, v8
	v_add_f32_e32 v8, v9, v21
	v_fma_f32 v20, -0.5, v8, v5
	v_mov_b32_e32 v24, v20
	v_fmac_f32_e32 v24, 0xbf737871, v7
	v_fmac_f32_e32 v20, 0x3f737871, v7
	v_fmac_f32_e32 v24, 0x3f167918, v3
	v_fmac_f32_e32 v20, 0xbf167918, v3
	v_add_f32_e32 v3, v6, v10
	v_add_f32_e32 v3, v3, v14
	;; [unrolled: 1-line block ×5, first 2 shown]
	v_sub_f32_e32 v5, v13, v9
	v_sub_f32_e32 v8, v17, v21
	v_fma_f32 v33, -0.5, v3, v6
	v_add_f32_e32 v5, v5, v8
	v_sub_f32_e32 v3, v9, v21
	v_mov_b32_e32 v21, v33
	v_fmac_f32_e32 v24, 0x3e9e377a, v5
	v_fmac_f32_e32 v20, 0x3e9e377a, v5
	;; [unrolled: 1-line block ×3, first 2 shown]
	v_sub_f32_e32 v5, v13, v17
	v_sub_f32_e32 v7, v10, v14
	;; [unrolled: 1-line block ×3, first 2 shown]
	v_fmac_f32_e32 v33, 0x3f737871, v3
	v_fmac_f32_e32 v21, 0xbf167918, v5
	v_add_f32_e32 v7, v7, v8
	v_fmac_f32_e32 v33, 0x3f167918, v5
	v_fmac_f32_e32 v21, 0x3e9e377a, v7
	;; [unrolled: 1-line block ×3, first 2 shown]
	v_add_f32_e32 v7, v10, v22
	v_fmac_f32_e32 v6, -0.5, v7
	v_mov_b32_e32 v13, v6
	v_sub_f32_e32 v7, v14, v10
	v_sub_f32_e32 v8, v18, v22
	v_fmac_f32_e32 v6, 0xbf737871, v5
	v_fmac_f32_e32 v13, 0x3f737871, v5
	v_add_f32_e32 v7, v7, v8
	v_fmac_f32_e32 v6, 0x3f167918, v3
	v_fmac_f32_e32 v13, 0xbf167918, v3
	;; [unrolled: 1-line block ×3, first 2 shown]
	v_mul_f32_e32 v14, 0x3f4f1bbd, v4
	v_mul_f32_e32 v5, 0x3e9e377a, v20
	;; [unrolled: 1-line block ×3, first 2 shown]
	v_fmac_f32_e32 v13, 0x3e9e377a, v7
	v_fmac_f32_e32 v14, 0x3f167918, v21
	v_fma_f32 v22, v6, s6, -v5
	v_mul_f32_e32 v8, 0x3f4f1bbd, v12
	v_fmac_f32_e32 v35, 0x3f4f1bbd, v21
	v_mul_f32_e32 v21, 0xbf737871, v24
	v_mul_f32_e32 v6, 0x3e9e377a, v6
	;; [unrolled: 1-line block ×3, first 2 shown]
	v_fma_f32 v34, v33, s7, -v8
	v_fmac_f32_e32 v21, 0x3e9e377a, v13
	v_fma_f32 v20, v20, s5, -v6
	v_mul_f32_e32 v13, 0x3f4f1bbd, v33
	v_add_f32_e32 v7, v23, v16
	v_add_f32_e32 v9, v26, v14
	;; [unrolled: 1-line block ×4, first 2 shown]
	v_fma_f32 v33, v12, s4, -v13
	v_sub_f32_e32 v13, v23, v16
	v_sub_f32_e32 v16, v26, v14
	;; [unrolled: 1-line block ×4, first 2 shown]
	v_mul_lo_u16_e32 v15, 10, v84
	v_fmac_f32_e32 v17, 0x3e9e377a, v24
	v_add_f32_e32 v8, v27, v32
	v_add_f32_e32 v10, v19, v35
	v_lshlrev_b32_e32 v44, 3, v15
	v_add_f32_e32 v3, v29, v17
	v_add_f32_e32 v5, v28, v22
	;; [unrolled: 1-line block ×4, first 2 shown]
	v_sub_f32_e32 v18, v29, v17
	v_sub_f32_e32 v24, v28, v22
	;; [unrolled: 1-line block ×6, first 2 shown]
	; wave barrier
	ds_write_b128 v44, v[7:10]
	ds_write_b128 v44, v[3:6] offset:16
	ds_write_b128 v44, v[11:14] offset:32
	;; [unrolled: 1-line block ×4, first 2 shown]
	s_waitcnt lgkmcnt(0)
	; wave barrier
	s_waitcnt lgkmcnt(0)
	ds_read2_b64 v[20:23], v83 offset1:100
	ds_read2_b64 v[32:35], v1 offset0:72 offset1:172
	ds_read2_b64 v[28:31], v0 offset0:144 offset1:244
	s_and_saveexec_b64 s[4:5], vcc
	s_cbranch_execz .LBB0_3
; %bb.2:
	ds_read2_b64 v[16:19], v83 offset0:60 offset1:160
	ds_read2_b64 v[24:27], v0 offset0:4 offset1:104
	;; [unrolled: 1-line block ×3, first 2 shown]
.LBB0_3:
	s_or_b64 exec, exec, s[4:5]
	s_movk_i32 s6, 0xcd
	v_mul_lo_u16_sdwa v0, v84, s6 dst_sel:DWORD dst_unused:UNUSED_PAD src0_sel:BYTE_0 src1_sel:DWORD
	v_lshrrev_b16_e32 v51, 11, v0
	v_mul_lo_u16_e32 v0, 10, v51
	v_sub_u16_e32 v0, v84, v0
	v_and_b32_e32 v52, 0xff, v0
	v_add_u16_e32 v0, 60, v84
	v_mul_lo_u16_sdwa v1, v0, s6 dst_sel:DWORD dst_unused:UNUSED_PAD src0_sel:BYTE_0 src1_sel:DWORD
	v_lshrrev_b16_e32 v53, 11, v1
	v_mad_u64_u32 v[41:42], s[4:5], v52, 40, s[14:15]
	v_mul_lo_u16_e32 v1, 10, v53
	v_sub_u16_e32 v0, v0, v1
	v_and_b32_e32 v85, 0xff, v0
	v_mad_u64_u32 v[45:46], s[4:5], v85, 40, s[14:15]
	global_load_dwordx4 v[8:11], v[41:42], off offset:16
	global_load_dwordx4 v[12:15], v[41:42], off
	global_load_dwordx2 v[79:80], v[41:42], off offset:32
	global_load_dwordx4 v[0:3], v[45:46], off
	global_load_dwordx4 v[4:7], v[45:46], off offset:16
	global_load_dwordx2 v[77:78], v[45:46], off offset:32
	s_waitcnt lgkmcnt(0)
	; wave barrier
	s_waitcnt vmcnt(3) lgkmcnt(0)
	v_mul_f32_e32 v86, v31, v80
	v_mul_f32_e32 v54, v35, v9
	;; [unrolled: 1-line block ×9, first 2 shown]
	s_waitcnt vmcnt(2)
	v_mul_f32_e32 v41, v18, v1
	v_mul_f32_e32 v42, v24, v3
	s_waitcnt vmcnt(1)
	v_mul_f32_e32 v90, v27, v5
	v_mul_f32_e32 v43, v26, v5
	;; [unrolled: 1-line block ×3, first 2 shown]
	v_fma_f32 v32, v32, v14, -v49
	v_fmac_f32_e32 v50, v33, v14
	v_fma_f32 v33, v34, v8, -v54
	v_fma_f32 v28, v28, v10, -v81
	v_fmac_f32_e32 v82, v29, v10
	v_fma_f32 v29, v30, v79, -v86
	v_mul_f32_e32 v48, v22, v13
	v_mul_f32_e32 v88, v19, v1
	;; [unrolled: 1-line block ×4, first 2 shown]
	s_waitcnt vmcnt(0)
	v_mul_f32_e32 v46, v38, v78
	v_fmac_f32_e32 v55, v35, v8
	v_fmac_f32_e32 v87, v31, v79
	;; [unrolled: 1-line block ×3, first 2 shown]
	v_fma_f32 v25, v26, v4, -v90
	v_fmac_f32_e32 v43, v27, v4
	v_fma_f32 v26, v22, v12, -v47
	v_fmac_f32_e32 v41, v19, v0
	v_fma_f32 v19, v36, v6, -v91
	v_add_f32_e32 v27, v32, v28
	v_add_f32_e32 v36, v33, v29
	v_mul_f32_e32 v92, v39, v78
	v_fmac_f32_e32 v48, v23, v12
	v_fmac_f32_e32 v45, v37, v6
	;; [unrolled: 1-line block ×3, first 2 shown]
	v_add_f32_e32 v23, v20, v32
	v_add_f32_e32 v34, v50, v82
	;; [unrolled: 1-line block ×3, first 2 shown]
	v_sub_f32_e32 v37, v55, v87
	v_add_f32_e32 v39, v55, v87
	v_fma_f32 v20, -0.5, v27, v20
	v_fmac_f32_e32 v26, -0.5, v36
	v_fma_f32 v22, v38, v77, -v92
	v_sub_f32_e32 v30, v50, v82
	v_add_f32_e32 v31, v21, v50
	v_sub_f32_e32 v32, v32, v28
	v_add_f32_e32 v38, v48, v55
	;; [unrolled: 2-line block ×3, first 2 shown]
	v_fma_f32 v21, -0.5, v34, v21
	v_add_f32_e32 v28, v35, v29
	v_fmac_f32_e32 v48, -0.5, v39
	v_mov_b32_e32 v35, v20
	v_mov_b32_e32 v34, v26
	v_fmac_f32_e32 v26, 0xbf5db3d7, v37
	v_add_f32_e32 v29, v38, v87
	v_fmac_f32_e32 v20, 0xbf5db3d7, v30
	v_mov_b32_e32 v38, v48
	v_fmac_f32_e32 v48, 0x3f5db3d7, v33
	v_fmac_f32_e32 v35, 0x3f5db3d7, v30
	v_mul_f32_e32 v30, -0.5, v26
	v_fma_f32 v24, v24, v2, -v89
	v_fmac_f32_e32 v34, 0x3f5db3d7, v37
	v_fmac_f32_e32 v30, 0x3f5db3d7, v48
	v_mov_b32_e32 v50, v21
	v_fmac_f32_e32 v38, 0xbf5db3d7, v33
	v_add_f32_e32 v36, v20, v30
	v_mul_f32_e32 v54, 0xbf5db3d7, v34
	v_mul_f32_e32 v55, -0.5, v48
	v_sub_f32_e32 v49, v20, v30
	v_add_f32_e32 v20, v24, v19
	v_fmac_f32_e32 v21, 0x3f5db3d7, v32
	v_fmac_f32_e32 v50, 0xbf5db3d7, v32
	v_mul_f32_e32 v39, 0x3f5db3d7, v38
	v_fmac_f32_e32 v54, 0.5, v38
	v_fmac_f32_e32 v55, 0xbf5db3d7, v26
	v_fma_f32 v20, -0.5, v20, v16
	v_add_f32_e32 v27, v31, v82
	v_add_f32_e32 v31, v23, v28
	v_fmac_f32_e32 v39, 0.5, v34
	v_add_f32_e32 v34, v50, v54
	v_add_f32_e32 v37, v21, v55
	v_sub_f32_e32 v38, v23, v28
	v_sub_f32_e32 v48, v50, v54
	;; [unrolled: 1-line block ×4, first 2 shown]
	v_mov_b32_e32 v21, v20
	v_fmac_f32_e32 v21, 0x3f5db3d7, v23
	v_fmac_f32_e32 v20, 0xbf5db3d7, v23
	v_add_f32_e32 v23, v42, v45
	v_fma_f32 v23, -0.5, v23, v17
	v_add_f32_e32 v33, v35, v39
	v_add_f32_e32 v32, v27, v29
	v_sub_f32_e32 v47, v35, v39
	v_sub_f32_e32 v39, v27, v29
	;; [unrolled: 1-line block ×3, first 2 shown]
	v_mov_b32_e32 v26, v23
	v_fma_f32 v18, v18, v0, -v88
	v_fmac_f32_e32 v26, 0xbf5db3d7, v27
	v_fmac_f32_e32 v23, 0x3f5db3d7, v27
	v_add_f32_e32 v27, v25, v22
	v_fma_f32 v35, -0.5, v27, v18
	v_sub_f32_e32 v27, v43, v46
	v_mov_b32_e32 v28, v35
	v_fmac_f32_e32 v28, 0x3f5db3d7, v27
	v_fmac_f32_e32 v35, 0xbf5db3d7, v27
	v_add_f32_e32 v27, v43, v46
	v_fma_f32 v30, -0.5, v27, v41
	v_sub_f32_e32 v27, v25, v22
	v_mov_b32_e32 v29, v30
	v_fmac_f32_e32 v29, 0xbf5db3d7, v27
	v_fmac_f32_e32 v30, 0x3f5db3d7, v27
	v_mul_f32_e32 v27, 0x3f5db3d7, v29
	v_fmac_f32_e32 v27, 0.5, v28
	v_mul_f32_e32 v28, 0xbf5db3d7, v28
	v_fmac_f32_e32 v28, 0.5, v29
	v_mul_f32_e32 v29, -0.5, v35
	v_fmac_f32_e32 v29, 0x3f5db3d7, v30
	v_mul_f32_e32 v30, -0.5, v30
	v_fmac_f32_e32 v30, 0xbf5db3d7, v35
	v_mul_u32_u24_e32 v35, 60, v51
	v_add_lshl_u32 v87, v35, v52, 3
	ds_write2_b64 v87, v[31:32], v[33:34] offset1:10
	v_sub_f32_e32 v32, v21, v27
	v_sub_f32_e32 v34, v20, v29
	;; [unrolled: 1-line block ×4, first 2 shown]
	v_mul_u32_u24_e32 v86, 60, v53
	ds_write2_b64 v87, v[36:37], v[38:39] offset0:20 offset1:30
	ds_write2_b64 v87, v[47:48], v[49:50] offset0:40 offset1:50
	s_and_saveexec_b64 s[4:5], vcc
	s_cbranch_execz .LBB0_5
; %bb.4:
	v_add_f32_e32 v17, v17, v42
	v_add_f32_e32 v16, v16, v24
	;; [unrolled: 1-line block ×14, first 2 shown]
	v_add_lshl_u32 v20, v86, v85, 3
	v_sub_f32_e32 v17, v31, v36
	v_sub_f32_e32 v16, v37, v25
	ds_write2_b64 v20, v[23:24], v[21:22] offset1:10
	ds_write2_b64 v20, v[18:19], v[16:17] offset0:20 offset1:30
	ds_write2_b64 v20, v[32:33], v[34:35] offset0:40 offset1:50
.LBB0_5:
	s_or_b64 exec, exec, s[4:5]
	v_mov_b32_e32 v17, s15
	s_movk_i32 s4, 0x48
	v_mov_b32_e32 v16, s14
	v_mad_u64_u32 v[36:37], s[4:5], v84, s4, v[16:17]
	s_waitcnt lgkmcnt(0)
	; wave barrier
	s_waitcnt lgkmcnt(0)
	global_load_dwordx4 v[28:31], v[36:37], off offset:400
	global_load_dwordx4 v[24:27], v[36:37], off offset:416
	;; [unrolled: 1-line block ×4, first 2 shown]
	global_load_dwordx2 v[81:82], v[36:37], off offset:464
	v_add_u32_e32 v48, 0x400, v83
	ds_read2_b64 v[36:39], v83 offset1:60
	ds_read2_b64 v[49:52], v83 offset0:120 offset1:180
	v_add_u32_e32 v89, 0x800, v83
	v_add_u32_e32 v88, 0xc00, v83
	ds_read2_b64 v[90:93], v48 offset0:112 offset1:172
	ds_read2_b64 v[94:97], v89 offset0:104 offset1:164
	ds_read2_b64 v[98:101], v88 offset0:96 offset1:156
	v_mov_b32_e32 v41, s13
	v_addc_co_u32_e64 v43, s[0:1], 0, v41, s[0:1]
	s_movk_i32 s0, 0x1000
	s_movk_i32 s4, 0x12c0
	s_waitcnt vmcnt(4) lgkmcnt(4)
	v_mul_f32_e32 v41, v39, v29
	v_mul_f32_e32 v46, v38, v29
	s_waitcnt lgkmcnt(3)
	v_mul_f32_e32 v42, v50, v31
	v_mul_f32_e32 v45, v49, v31
	s_waitcnt vmcnt(3)
	v_mul_f32_e32 v47, v52, v25
	s_waitcnt lgkmcnt(2)
	v_mul_f32_e32 v54, v91, v27
	s_waitcnt vmcnt(2) lgkmcnt(1)
	v_mul_f32_e32 v104, v95, v23
	s_waitcnt vmcnt(1) lgkmcnt(0)
	v_mul_f32_e32 v108, v99, v19
	v_mul_f32_e32 v102, v93, v21
	;; [unrolled: 1-line block ×3, first 2 shown]
	v_fma_f32 v112, v38, v28, -v41
	v_fmac_f32_e32 v46, v39, v28
	v_fma_f32 v38, v49, v30, -v42
	v_fmac_f32_e32 v45, v50, v30
	v_fma_f32 v39, v51, v24, -v47
	v_fma_f32 v41, v90, v26, -v54
	;; [unrolled: 1-line block ×4, first 2 shown]
	v_mul_f32_e32 v55, v90, v27
	v_mul_f32_e32 v105, v94, v23
	;; [unrolled: 1-line block ×3, first 2 shown]
	v_fma_f32 v42, v92, v20, -v102
	v_fmac_f32_e32 v103, v93, v20
	v_sub_f32_e32 v92, v38, v41
	v_sub_f32_e32 v93, v50, v47
	v_add_f32_e32 v94, v38, v50
	v_mul_f32_e32 v53, v51, v25
	v_mul_f32_e32 v107, v96, v17
	;; [unrolled: 1-line block ×3, first 2 shown]
	v_fmac_f32_e32 v55, v91, v26
	v_fmac_f32_e32 v105, v95, v22
	v_fma_f32 v49, v96, v16, -v106
	v_add_f32_e32 v54, v41, v47
	v_sub_f32_e32 v95, v41, v38
	v_sub_f32_e32 v96, v47, v50
	v_add_f32_e32 v92, v92, v93
	v_fma_f32 v93, -0.5, v94, v36
	v_fmac_f32_e32 v53, v52, v24
	v_fmac_f32_e32 v109, v99, v18
	v_add_f32_e32 v52, v36, v38
	v_sub_f32_e32 v91, v55, v105
	v_fma_f32 v54, -0.5, v54, v36
	v_add_f32_e32 v36, v95, v96
	v_mov_b32_e32 v96, v93
	v_sub_f32_e32 v90, v45, v109
	v_add_f32_e32 v98, v55, v105
	v_mov_b32_e32 v95, v54
	v_fmac_f32_e32 v93, 0x3f737871, v91
	v_fmac_f32_e32 v96, 0xbf737871, v91
	;; [unrolled: 1-line block ×6, first 2 shown]
	v_fma_f32 v98, -0.5, v98, v37
	v_add_f32_e32 v52, v52, v41
	v_fmac_f32_e32 v54, 0xbf167918, v91
	v_fmac_f32_e32 v95, 0x3f167918, v91
	v_fmac_f32_e32 v93, 0x3e9e377a, v36
	v_fmac_f32_e32 v96, 0x3e9e377a, v36
	v_sub_f32_e32 v36, v38, v50
	v_mov_b32_e32 v91, v98
	v_add_f32_e32 v52, v52, v47
	v_fmac_f32_e32 v91, 0xbf737871, v36
	v_sub_f32_e32 v38, v41, v47
	v_sub_f32_e32 v41, v45, v55
	;; [unrolled: 1-line block ×3, first 2 shown]
	v_fmac_f32_e32 v98, 0x3f737871, v36
	v_fmac_f32_e32 v91, 0xbf167918, v38
	v_add_f32_e32 v41, v41, v47
	v_fmac_f32_e32 v98, 0x3f167918, v38
	v_fmac_f32_e32 v91, 0x3e9e377a, v41
	;; [unrolled: 1-line block ×3, first 2 shown]
	v_add_f32_e32 v41, v45, v109
	v_fma_f32 v47, -0.5, v41, v37
	v_mov_b32_e32 v99, v47
	v_fmac_f32_e32 v99, 0x3f737871, v38
	v_fmac_f32_e32 v47, 0xbf737871, v38
	;; [unrolled: 1-line block ×4, first 2 shown]
	v_add_f32_e32 v36, v112, v39
	s_waitcnt vmcnt(0)
	v_mul_f32_e32 v110, v101, v82
	v_add_f32_e32 v36, v36, v42
	v_fmac_f32_e32 v107, v97, v16
	v_fma_f32 v51, v100, v81, -v110
	v_add_f32_e32 v97, v37, v45
	v_add_f32_e32 v36, v36, v49
	v_mul_f32_e32 v111, v100, v82
	v_add_f32_e32 v94, v97, v55
	v_sub_f32_e32 v37, v55, v45
	v_add_f32_e32 v55, v36, v51
	v_add_f32_e32 v36, v42, v49
	v_fmac_f32_e32 v111, v101, v81
	v_add_f32_e32 v52, v52, v50
	v_sub_f32_e32 v41, v105, v109
	v_fma_f32 v50, -0.5, v36, v112
	v_add_f32_e32 v37, v37, v41
	v_sub_f32_e32 v36, v53, v111
	v_mov_b32_e32 v90, v50
	v_fmac_f32_e32 v99, 0x3e9e377a, v37
	v_fmac_f32_e32 v47, 0x3e9e377a, v37
	;; [unrolled: 1-line block ×3, first 2 shown]
	v_sub_f32_e32 v37, v103, v107
	v_sub_f32_e32 v38, v39, v42
	;; [unrolled: 1-line block ×3, first 2 shown]
	v_fmac_f32_e32 v50, 0xbf737871, v36
	v_fmac_f32_e32 v90, 0x3f167918, v37
	v_add_f32_e32 v38, v38, v41
	v_fmac_f32_e32 v50, 0xbf167918, v37
	v_fmac_f32_e32 v90, 0x3e9e377a, v38
	v_fmac_f32_e32 v50, 0x3e9e377a, v38
	v_add_f32_e32 v38, v39, v51
	v_fmac_f32_e32 v112, -0.5, v38
	v_fmac_f32_e32 v54, 0x3e9e377a, v92
	v_fmac_f32_e32 v95, 0x3e9e377a, v92
	v_mov_b32_e32 v92, v112
	v_fmac_f32_e32 v92, 0xbf737871, v37
	v_fmac_f32_e32 v112, 0x3f737871, v37
	;; [unrolled: 1-line block ×4, first 2 shown]
	v_add_f32_e32 v36, v46, v53
	v_add_f32_e32 v36, v36, v103
	;; [unrolled: 1-line block ×7, first 2 shown]
	v_sub_f32_e32 v38, v42, v39
	v_sub_f32_e32 v41, v49, v51
	v_fma_f32 v94, -0.5, v36, v46
	v_add_f32_e32 v38, v38, v41
	v_sub_f32_e32 v36, v39, v51
	v_mov_b32_e32 v39, v94
	v_fmac_f32_e32 v92, 0x3e9e377a, v38
	v_fmac_f32_e32 v112, 0x3e9e377a, v38
	;; [unrolled: 1-line block ×3, first 2 shown]
	v_sub_f32_e32 v37, v42, v49
	v_sub_f32_e32 v38, v53, v103
	;; [unrolled: 1-line block ×3, first 2 shown]
	v_fmac_f32_e32 v94, 0x3f737871, v36
	v_fmac_f32_e32 v39, 0xbf167918, v37
	v_add_f32_e32 v38, v38, v41
	v_fmac_f32_e32 v94, 0x3f167918, v37
	v_fmac_f32_e32 v39, 0x3e9e377a, v38
	;; [unrolled: 1-line block ×3, first 2 shown]
	v_add_f32_e32 v38, v53, v111
	v_fmac_f32_e32 v46, -0.5, v38
	v_mov_b32_e32 v42, v46
	v_fmac_f32_e32 v42, 0x3f737871, v37
	v_sub_f32_e32 v38, v103, v53
	v_sub_f32_e32 v41, v107, v111
	v_fmac_f32_e32 v46, 0xbf737871, v37
	v_fmac_f32_e32 v42, 0xbf167918, v36
	v_add_f32_e32 v38, v38, v41
	v_fmac_f32_e32 v46, 0x3f167918, v36
	v_fmac_f32_e32 v42, 0x3e9e377a, v38
	;; [unrolled: 1-line block ×3, first 2 shown]
	v_mul_f32_e32 v53, 0x3f167918, v39
	v_mul_f32_e32 v104, 0xbf167918, v90
	v_fmac_f32_e32 v53, 0x3f4f1bbd, v90
	v_mul_f32_e32 v101, 0x3f737871, v42
	v_mul_f32_e32 v102, 0xbe9e377a, v112
	;; [unrolled: 1-line block ×3, first 2 shown]
	v_fmac_f32_e32 v104, 0x3f4f1bbd, v39
	v_mul_f32_e32 v105, 0xbf737871, v92
	v_mul_f32_e32 v106, 0xbe9e377a, v46
	;; [unrolled: 1-line block ×3, first 2 shown]
	v_add_f32_e32 v36, v52, v55
	v_add_f32_e32 v38, v95, v53
	v_fmac_f32_e32 v101, 0x3e9e377a, v92
	v_fmac_f32_e32 v102, 0x3f737871, v46
	;; [unrolled: 1-line block ×3, first 2 shown]
	v_add_f32_e32 v37, v97, v100
	v_add_f32_e32 v39, v91, v104
	v_fmac_f32_e32 v105, 0x3e9e377a, v42
	v_fmac_f32_e32 v106, 0xbf737871, v112
	;; [unrolled: 1-line block ×3, first 2 shown]
	v_add_f32_e32 v41, v96, v101
	v_add_f32_e32 v45, v93, v102
	v_add_f32_e32 v49, v54, v103
	v_add_f32_e32 v42, v99, v105
	v_add_f32_e32 v46, v47, v106
	v_add_f32_e32 v50, v98, v107
	v_sub_f32_e32 v51, v52, v55
	v_sub_f32_e32 v53, v95, v53
	;; [unrolled: 1-line block ×10, first 2 shown]
	ds_write2_b64 v83, v[36:37], v[38:39] offset1:60
	ds_write2_b64 v83, v[41:42], v[45:46] offset0:120 offset1:180
	ds_write2_b64 v48, v[49:50], v[51:52] offset0:112 offset1:172
	;; [unrolled: 1-line block ×4, first 2 shown]
	v_add_co_u32_e64 v36, s[0:1], s0, v40
	v_addc_co_u32_e64 v37, s[0:1], 0, v43, s[0:1]
	s_waitcnt lgkmcnt(0)
	; wave barrier
	s_waitcnt lgkmcnt(0)
	global_load_dwordx2 v[41:42], v[36:37], off offset:704
	v_add_co_u32_e64 v36, s[0:1], s4, v40
	v_addc_co_u32_e64 v37, s[0:1], 0, v43, s[0:1]
	global_load_dwordx2 v[45:46], v[36:37], off offset:480
	global_load_dwordx2 v[49:50], v[36:37], off offset:960
	;; [unrolled: 1-line block ×8, first 2 shown]
	s_movk_i32 s0, 0x2000
	v_add_co_u32_e64 v36, s[0:1], s0, v40
	v_addc_co_u32_e64 v37, s[0:1], 0, v43, s[0:1]
	global_load_dwordx2 v[98:99], v[36:37], off offset:928
	ds_read2_b64 v[36:39], v83 offset1:60
	s_waitcnt vmcnt(9) lgkmcnt(0)
	v_mul_f32_e32 v40, v37, v42
	v_mul_f32_e32 v101, v36, v42
	v_fma_f32 v100, v36, v41, -v40
	v_fmac_f32_e32 v101, v37, v41
	s_waitcnt vmcnt(8)
	v_mul_f32_e32 v36, v39, v46
	v_mul_f32_e32 v37, v38, v46
	v_fma_f32 v36, v38, v45, -v36
	v_fmac_f32_e32 v37, v39, v45
	ds_write2_b64 v83, v[100:101], v[36:37] offset1:60
	ds_read2_b64 v[36:39], v83 offset0:120 offset1:180
	s_waitcnt vmcnt(7) lgkmcnt(0)
	v_mul_f32_e32 v40, v37, v50
	v_fma_f32 v45, v36, v49, -v40
	ds_read2_b64 v[40:43], v48 offset0:112 offset1:172
	v_mul_f32_e32 v46, v36, v50
	v_fmac_f32_e32 v46, v37, v49
	s_waitcnt vmcnt(6)
	v_mul_f32_e32 v36, v39, v52
	v_mul_f32_e32 v37, v38, v52
	v_fma_f32 v36, v38, v51, -v36
	v_fmac_f32_e32 v37, v39, v51
	ds_write2_b64 v83, v[45:46], v[36:37] offset0:120 offset1:180
	s_waitcnt vmcnt(5) lgkmcnt(1)
	v_mul_f32_e32 v36, v41, v54
	v_fma_f32 v45, v40, v53, -v36
	ds_read2_b64 v[36:39], v89 offset0:104 offset1:164
	v_mul_f32_e32 v46, v40, v54
	v_fmac_f32_e32 v46, v41, v53
	s_waitcnt vmcnt(4)
	v_mul_f32_e32 v40, v43, v91
	v_mul_f32_e32 v41, v42, v91
	v_fma_f32 v40, v42, v90, -v40
	v_fmac_f32_e32 v41, v43, v90
	ds_write2_b64 v48, v[45:46], v[40:41] offset0:112 offset1:172
	;; [unrolled: 12-line block ×3, first 2 shown]
	s_waitcnt vmcnt(1) lgkmcnt(1)
	v_mul_f32_e32 v36, v41, v97
	v_mul_f32_e32 v37, v40, v97
	s_waitcnt vmcnt(0)
	v_mul_f32_e32 v38, v43, v99
	v_mul_f32_e32 v39, v42, v99
	v_fma_f32 v36, v40, v96, -v36
	v_fmac_f32_e32 v37, v41, v96
	v_fma_f32 v38, v42, v98, -v38
	v_fmac_f32_e32 v39, v43, v98
	ds_write2_b64 v88, v[36:37], v[38:39] offset0:96 offset1:156
	s_waitcnt lgkmcnt(0)
	; wave barrier
	s_waitcnt lgkmcnt(0)
	ds_read2_b64 v[36:39], v83 offset1:60
	ds_read2_b64 v[40:43], v83 offset0:120 offset1:180
	ds_read2_b64 v[49:52], v48 offset0:112 offset1:172
	;; [unrolled: 1-line block ×4, first 2 shown]
	s_waitcnt lgkmcnt(0)
	v_add_f32_e32 v45, v36, v40
	v_sub_f32_e32 v55, v40, v49
	v_add_f32_e32 v46, v49, v90
	v_fma_f32 v46, -0.5, v46, v36
	v_sub_f32_e32 v47, v41, v95
	v_mov_b32_e32 v53, v46
	v_fmac_f32_e32 v53, 0xbf737871, v47
	v_sub_f32_e32 v54, v50, v91
	v_sub_f32_e32 v98, v94, v90
	v_fmac_f32_e32 v46, 0x3f737871, v47
	v_fmac_f32_e32 v53, 0xbf167918, v54
	v_add_f32_e32 v55, v55, v98
	v_fmac_f32_e32 v46, 0x3f167918, v54
	v_fmac_f32_e32 v53, 0x3e9e377a, v55
	;; [unrolled: 1-line block ×3, first 2 shown]
	v_add_f32_e32 v55, v40, v94
	v_fma_f32 v55, -0.5, v55, v36
	v_mov_b32_e32 v98, v55
	v_fmac_f32_e32 v98, 0x3f737871, v54
	v_sub_f32_e32 v36, v49, v40
	v_sub_f32_e32 v99, v90, v94
	v_fmac_f32_e32 v55, 0xbf737871, v54
	v_fmac_f32_e32 v98, 0xbf167918, v47
	v_add_f32_e32 v36, v36, v99
	v_fmac_f32_e32 v55, 0x3f167918, v47
	v_fmac_f32_e32 v98, 0x3e9e377a, v36
	v_fmac_f32_e32 v55, 0x3e9e377a, v36
	v_add_f32_e32 v36, v37, v41
	v_add_f32_e32 v36, v36, v50
	;; [unrolled: 1-line block ×5, first 2 shown]
	v_fma_f32 v54, -0.5, v36, v37
	v_add_f32_e32 v45, v45, v49
	v_sub_f32_e32 v36, v40, v94
	v_mov_b32_e32 v99, v54
	v_add_f32_e32 v45, v45, v90
	v_fmac_f32_e32 v99, 0x3f737871, v36
	v_sub_f32_e32 v40, v49, v90
	v_sub_f32_e32 v49, v41, v50
	;; [unrolled: 1-line block ×3, first 2 shown]
	v_fmac_f32_e32 v54, 0xbf737871, v36
	v_fmac_f32_e32 v99, 0x3f167918, v40
	v_add_f32_e32 v49, v49, v90
	v_fmac_f32_e32 v54, 0xbf167918, v40
	v_fmac_f32_e32 v99, 0x3e9e377a, v49
	;; [unrolled: 1-line block ×3, first 2 shown]
	v_add_f32_e32 v49, v41, v95
	v_fma_f32 v100, -0.5, v49, v37
	v_mov_b32_e32 v101, v100
	v_fmac_f32_e32 v101, 0xbf737871, v40
	v_sub_f32_e32 v37, v50, v41
	v_sub_f32_e32 v41, v91, v95
	v_fmac_f32_e32 v100, 0x3f737871, v40
	v_fmac_f32_e32 v101, 0x3f167918, v36
	v_add_f32_e32 v37, v37, v41
	v_fmac_f32_e32 v100, 0xbf167918, v36
	v_fmac_f32_e32 v101, 0x3e9e377a, v37
	;; [unrolled: 1-line block ×3, first 2 shown]
	v_add_f32_e32 v37, v51, v92
	v_fma_f32 v37, -0.5, v37, v38
	v_sub_f32_e32 v40, v43, v97
	v_mov_b32_e32 v41, v37
	v_fmac_f32_e32 v41, 0xbf737871, v40
	v_sub_f32_e32 v49, v52, v93
	v_sub_f32_e32 v50, v42, v51
	;; [unrolled: 1-line block ×3, first 2 shown]
	v_fmac_f32_e32 v37, 0x3f737871, v40
	v_fmac_f32_e32 v41, 0xbf167918, v49
	v_add_f32_e32 v50, v50, v90
	v_fmac_f32_e32 v37, 0x3f167918, v49
	v_fmac_f32_e32 v41, 0x3e9e377a, v50
	v_fmac_f32_e32 v37, 0x3e9e377a, v50
	v_add_f32_e32 v50, v42, v96
	v_add_f32_e32 v36, v38, v42
	v_fma_f32 v38, -0.5, v50, v38
	v_mov_b32_e32 v91, v38
	v_fmac_f32_e32 v91, 0x3f737871, v49
	v_fmac_f32_e32 v38, 0xbf737871, v49
	;; [unrolled: 1-line block ×4, first 2 shown]
	v_add_f32_e32 v40, v39, v43
	v_add_f32_e32 v40, v40, v52
	;; [unrolled: 1-line block ×5, first 2 shown]
	v_sub_f32_e32 v50, v51, v42
	v_sub_f32_e32 v90, v92, v96
	v_fma_f32 v40, -0.5, v40, v39
	v_add_f32_e32 v50, v50, v90
	v_sub_f32_e32 v42, v42, v96
	v_mov_b32_e32 v95, v40
	v_add_f32_e32 v36, v36, v51
	v_fmac_f32_e32 v91, 0x3e9e377a, v50
	v_fmac_f32_e32 v38, 0x3e9e377a, v50
	;; [unrolled: 1-line block ×3, first 2 shown]
	v_sub_f32_e32 v49, v51, v92
	v_sub_f32_e32 v50, v43, v52
	;; [unrolled: 1-line block ×3, first 2 shown]
	v_fmac_f32_e32 v40, 0xbf737871, v42
	v_fmac_f32_e32 v95, 0x3f167918, v49
	v_add_f32_e32 v50, v50, v51
	v_fmac_f32_e32 v40, 0xbf167918, v49
	v_fmac_f32_e32 v95, 0x3e9e377a, v50
	;; [unrolled: 1-line block ×3, first 2 shown]
	v_add_f32_e32 v50, v43, v97
	v_add_f32_e32 v36, v36, v92
	v_fmac_f32_e32 v39, -0.5, v50
	v_add_f32_e32 v36, v36, v96
	v_mov_b32_e32 v96, v39
	v_fmac_f32_e32 v96, 0xbf737871, v49
	v_sub_f32_e32 v43, v52, v43
	v_sub_f32_e32 v50, v93, v97
	v_fmac_f32_e32 v39, 0x3f737871, v49
	v_fmac_f32_e32 v96, 0x3f167918, v42
	v_add_f32_e32 v43, v43, v50
	v_fmac_f32_e32 v39, 0xbf167918, v42
	v_mul_f32_e32 v42, 0xbf167918, v95
	v_fmac_f32_e32 v96, 0x3e9e377a, v43
	v_fmac_f32_e32 v39, 0x3e9e377a, v43
	;; [unrolled: 1-line block ×3, first 2 shown]
	v_mul_f32_e32 v41, 0x3f167918, v41
	v_add_f32_e32 v45, v45, v94
	v_mul_f32_e32 v43, 0xbf737871, v96
	v_mul_f32_e32 v97, 0xbf737871, v39
	;; [unrolled: 1-line block ×3, first 2 shown]
	v_fmac_f32_e32 v41, 0x3f4f1bbd, v95
	v_mul_f32_e32 v104, 0x3e9e377a, v96
	v_mul_f32_e32 v105, 0xbe9e377a, v39
	v_mul_f32_e32 v106, 0xbf4f1bbd, v40
	v_add_f32_e32 v49, v45, v36
	v_add_f32_e32 v51, v53, v42
	v_fmac_f32_e32 v43, 0x3e9e377a, v91
	v_fmac_f32_e32 v97, 0xbe9e377a, v38
	v_fmac_f32_e32 v103, 0xbf4f1bbd, v37
	v_add_f32_e32 v50, v47, v102
	v_add_f32_e32 v52, v99, v41
	v_fmac_f32_e32 v104, 0x3f737871, v91
	v_fmac_f32_e32 v105, 0x3f737871, v38
	;; [unrolled: 1-line block ×3, first 2 shown]
	v_add_f32_e32 v90, v98, v43
	v_add_f32_e32 v92, v55, v97
	;; [unrolled: 1-line block ×6, first 2 shown]
	v_sub_f32_e32 v96, v45, v36
	v_sub_f32_e32 v36, v53, v42
	;; [unrolled: 1-line block ×10, first 2 shown]
	; wave barrier
	ds_write_b128 v44, v[49:52]
	ds_write_b128 v44, v[90:93] offset:16
	ds_write_b128 v44, v[94:97] offset:32
	ds_write_b128 v44, v[36:39] offset:48
	ds_write_b128 v44, v[40:43] offset:64
	s_waitcnt lgkmcnt(0)
	; wave barrier
	s_waitcnt lgkmcnt(0)
	ds_read2_b64 v[44:47], v83 offset1:100
	ds_read2_b64 v[52:55], v48 offset0:72 offset1:172
	ds_read2_b64 v[48:51], v89 offset0:144 offset1:244
	s_and_saveexec_b64 s[0:1], vcc
	s_cbranch_execz .LBB0_7
; %bb.6:
	ds_read2_b64 v[36:39], v83 offset0:60 offset1:160
	ds_read2_b64 v[40:43], v89 offset0:4 offset1:104
	;; [unrolled: 1-line block ×3, first 2 shown]
.LBB0_7:
	s_or_b64 exec, exec, s[0:1]
	s_waitcnt lgkmcnt(2)
	v_mul_f32_e32 v88, v13, v47
	v_mul_f32_e32 v13, v13, v46
	v_fmac_f32_e32 v88, v12, v46
	v_fma_f32 v13, v12, v47, -v13
	s_waitcnt lgkmcnt(1)
	v_mul_f32_e32 v12, v15, v53
	v_mul_f32_e32 v15, v15, v52
	v_fmac_f32_e32 v12, v14, v52
	v_fma_f32 v14, v14, v53, -v15
	v_mul_f32_e32 v15, v9, v55
	v_mul_f32_e32 v9, v9, v54
	v_fmac_f32_e32 v15, v8, v54
	v_fma_f32 v8, v8, v55, -v9
	s_waitcnt lgkmcnt(0)
	v_mul_f32_e32 v9, v11, v49
	v_fmac_f32_e32 v9, v10, v48
	v_mul_f32_e32 v11, v11, v48
	v_add_f32_e32 v48, v12, v9
	v_fma_f32 v10, v10, v49, -v11
	v_fma_f32 v48, -0.5, v48, v44
	v_add_f32_e32 v47, v44, v12
	v_sub_f32_e32 v44, v14, v10
	v_mov_b32_e32 v49, v48
	v_mul_f32_e32 v11, v80, v51
	v_fmac_f32_e32 v49, 0xbf5db3d7, v44
	v_fmac_f32_e32 v48, 0x3f5db3d7, v44
	v_add_f32_e32 v44, v45, v14
	v_fmac_f32_e32 v11, v79, v50
	v_mul_f32_e32 v46, v80, v50
	v_add_f32_e32 v50, v44, v10
	v_add_f32_e32 v10, v14, v10
	v_fma_f32 v46, v79, v51, -v46
	v_fma_f32 v51, -0.5, v10, v45
	v_add_f32_e32 v47, v47, v9
	v_sub_f32_e32 v9, v12, v9
	v_mov_b32_e32 v45, v51
	v_fmac_f32_e32 v45, 0x3f5db3d7, v9
	v_fmac_f32_e32 v51, 0xbf5db3d7, v9
	v_add_f32_e32 v9, v88, v15
	v_add_f32_e32 v14, v9, v11
	v_add_f32_e32 v9, v15, v11
	v_fmac_f32_e32 v88, -0.5, v9
	v_sub_f32_e32 v9, v8, v46
	v_mov_b32_e32 v44, v88
	v_fmac_f32_e32 v44, 0xbf5db3d7, v9
	v_fmac_f32_e32 v88, 0x3f5db3d7, v9
	v_add_f32_e32 v9, v13, v8
	v_add_f32_e32 v8, v8, v46
	v_fmac_f32_e32 v13, -0.5, v8
	v_sub_f32_e32 v8, v15, v11
	v_mov_b32_e32 v11, v13
	v_fmac_f32_e32 v11, 0x3f5db3d7, v8
	v_fmac_f32_e32 v13, 0xbf5db3d7, v8
	v_mul_f32_e32 v15, 0xbf5db3d7, v11
	v_mul_f32_e32 v53, 0.5, v11
	v_add_f32_e32 v52, v9, v46
	v_fmac_f32_e32 v15, 0.5, v44
	v_mul_f32_e32 v46, 0xbf5db3d7, v13
	v_fmac_f32_e32 v53, 0x3f5db3d7, v44
	v_mul_f32_e32 v54, -0.5, v13
	v_add_f32_e32 v8, v47, v14
	v_add_f32_e32 v10, v49, v15
	v_fmac_f32_e32 v46, -0.5, v88
	v_add_f32_e32 v9, v50, v52
	v_add_f32_e32 v11, v45, v53
	v_fmac_f32_e32 v54, 0x3f5db3d7, v88
	v_add_f32_e32 v12, v48, v46
	v_add_f32_e32 v13, v51, v54
	v_sub_f32_e32 v14, v47, v14
	v_sub_f32_e32 v44, v49, v15
	;; [unrolled: 1-line block ×6, first 2 shown]
	s_waitcnt lgkmcnt(0)
	; wave barrier
	ds_write2_b64 v87, v[8:9], v[10:11] offset1:10
	ds_write2_b64 v87, v[12:13], v[14:15] offset0:20 offset1:30
	ds_write2_b64 v87, v[44:45], v[46:47] offset0:40 offset1:50
	s_and_saveexec_b64 s[0:1], vcc
	s_cbranch_execz .LBB0_9
; %bb.8:
	v_mul_f32_e32 v13, v5, v43
	v_mul_f32_e32 v14, v78, v35
	;; [unrolled: 1-line block ×3, first 2 shown]
	v_fmac_f32_e32 v13, v4, v42
	v_fmac_f32_e32 v14, v77, v34
	v_mul_f32_e32 v8, v3, v40
	v_mul_f32_e32 v11, v3, v41
	v_fmac_f32_e32 v12, v0, v38
	v_add_f32_e32 v3, v13, v14
	v_fma_f32 v15, -0.5, v3, v12
	v_mul_f32_e32 v3, v5, v42
	v_fma_f32 v4, v4, v43, -v3
	v_mul_f32_e32 v3, v78, v34
	v_fma_f32 v5, v77, v35, -v3
	v_mul_f32_e32 v1, v1, v38
	v_mul_f32_e32 v9, v7, v32
	v_fma_f32 v0, v0, v39, -v1
	v_add_f32_e32 v1, v4, v5
	v_fma_f32 v8, v2, v41, -v8
	v_fma_f32 v9, v6, v33, -v9
	v_mul_f32_e32 v7, v7, v33
	v_fma_f32 v33, -0.5, v1, v0
	v_add_f32_e32 v10, v8, v9
	v_sub_f32_e32 v34, v13, v14
	v_mov_b32_e32 v35, v33
	v_fma_f32 v10, -0.5, v10, v37
	v_fmac_f32_e32 v11, v2, v40
	v_fmac_f32_e32 v7, v6, v32
	v_sub_f32_e32 v3, v4, v5
	v_mov_b32_e32 v32, v15
	v_fmac_f32_e32 v35, 0xbf5db3d7, v34
	v_add_f32_e32 v0, v0, v4
	v_sub_f32_e32 v2, v11, v7
	v_mov_b32_e32 v6, v10
	v_fmac_f32_e32 v32, 0x3f5db3d7, v3
	v_mul_f32_e32 v38, -0.5, v35
	v_fmac_f32_e32 v33, 0x3f5db3d7, v34
	v_add_f32_e32 v39, v0, v5
	v_add_f32_e32 v0, v11, v7
	v_mul_f32_e32 v35, 0xbf5db3d7, v35
	v_fmac_f32_e32 v6, 0xbf5db3d7, v2
	v_fmac_f32_e32 v38, 0x3f5db3d7, v32
	;; [unrolled: 1-line block ×4, first 2 shown]
	v_mul_f32_e32 v34, 0.5, v33
	v_add_f32_e32 v2, v37, v8
	v_fma_f32 v40, -0.5, v0, v36
	v_fmac_f32_e32 v35, -0.5, v32
	v_mul_f32_e32 v32, 0xbf5db3d7, v33
	v_add_f32_e32 v4, v36, v11
	v_fmac_f32_e32 v34, 0x3f5db3d7, v15
	v_add_f32_e32 v37, v2, v9
	v_sub_f32_e32 v2, v8, v9
	v_mov_b32_e32 v8, v40
	v_fmac_f32_e32 v32, 0.5, v15
	v_add_f32_e32 v15, v4, v7
	v_add_f32_e32 v4, v12, v13
	v_fmac_f32_e32 v8, 0x3f5db3d7, v2
	v_fmac_f32_e32 v40, 0xbf5db3d7, v2
	v_add_f32_e32 v12, v4, v14
	v_sub_f32_e32 v1, v6, v38
	v_sub_f32_e32 v3, v10, v34
	;; [unrolled: 1-line block ×4, first 2 shown]
	v_add_f32_e32 v7, v6, v38
	v_add_f32_e32 v9, v10, v34
	;; [unrolled: 1-line block ×6, first 2 shown]
	v_add_lshl_u32 v12, v86, v85, 3
	v_sub_f32_e32 v5, v37, v39
	v_sub_f32_e32 v2, v40, v32
	ds_write2_b64 v12, v[10:11], v[8:9] offset1:10
	ds_write2_b64 v12, v[6:7], v[4:5] offset0:20 offset1:30
	ds_write2_b64 v12, v[2:3], v[0:1] offset0:40 offset1:50
.LBB0_9:
	s_or_b64 exec, exec, s[0:1]
	s_waitcnt lgkmcnt(0)
	; wave barrier
	s_waitcnt lgkmcnt(0)
	ds_read2_b64 v[1:4], v83 offset1:60
	ds_read2_b64 v[5:8], v83 offset0:120 offset1:180
	v_add_u32_e32 v40, 0x400, v83
	ds_read2_b64 v[9:12], v40 offset0:112 offset1:172
	v_add_u32_e32 v41, 0x800, v83
	s_waitcnt lgkmcnt(2)
	v_mul_f32_e32 v15, v29, v4
	ds_read2_b64 v[32:35], v41 offset0:104 offset1:164
	v_fmac_f32_e32 v15, v28, v3
	v_mul_f32_e32 v3, v29, v3
	v_add_u32_e32 v0, 0xc00, v83
	v_fma_f32 v28, v28, v4, -v3
	s_waitcnt lgkmcnt(2)
	v_mul_f32_e32 v3, v31, v6
	ds_read2_b64 v[36:39], v0 offset0:96 offset1:156
	v_fmac_f32_e32 v3, v30, v5
	v_mul_f32_e32 v4, v31, v5
	v_mul_f32_e32 v5, v25, v8
	v_fma_f32 v4, v30, v6, -v4
	v_fmac_f32_e32 v5, v24, v7
	v_mul_f32_e32 v6, v25, v7
	s_waitcnt lgkmcnt(2)
	v_mul_f32_e32 v7, v27, v10
	v_fma_f32 v6, v24, v8, -v6
	v_fmac_f32_e32 v7, v26, v9
	v_mul_f32_e32 v8, v27, v9
	v_mul_f32_e32 v9, v21, v12
	v_fma_f32 v8, v26, v10, -v8
	v_fmac_f32_e32 v9, v20, v11
	v_mul_f32_e32 v10, v21, v11
	s_waitcnt lgkmcnt(1)
	v_mul_f32_e32 v11, v23, v33
	v_fma_f32 v10, v20, v12, -v10
	v_fmac_f32_e32 v11, v22, v32
	v_mul_f32_e32 v20, v17, v35
	v_mul_f32_e32 v17, v17, v34
	;; [unrolled: 1-line block ×3, first 2 shown]
	v_fmac_f32_e32 v20, v16, v34
	v_fma_f32 v16, v16, v35, -v17
	s_waitcnt lgkmcnt(0)
	v_mul_f32_e32 v17, v19, v37
	v_mul_f32_e32 v19, v19, v36
	v_add_f32_e32 v23, v7, v11
	v_fmac_f32_e32 v17, v18, v36
	v_fma_f32 v18, v18, v37, -v19
	v_fma_f32 v23, -0.5, v23, v1
	v_fma_f32 v12, v22, v33, -v12
	v_sub_f32_e32 v24, v4, v18
	v_mov_b32_e32 v25, v23
	v_fmac_f32_e32 v25, 0xbf737871, v24
	v_sub_f32_e32 v26, v8, v12
	v_sub_f32_e32 v27, v3, v7
	;; [unrolled: 1-line block ×3, first 2 shown]
	v_fmac_f32_e32 v23, 0x3f737871, v24
	v_fmac_f32_e32 v25, 0xbf167918, v26
	v_add_f32_e32 v27, v27, v29
	v_fmac_f32_e32 v23, 0x3f167918, v26
	v_fmac_f32_e32 v25, 0x3e9e377a, v27
	;; [unrolled: 1-line block ×3, first 2 shown]
	v_add_f32_e32 v27, v3, v17
	v_fma_f32 v27, -0.5, v27, v1
	v_mov_b32_e32 v29, v27
	v_add_f32_e32 v22, v1, v3
	v_fmac_f32_e32 v29, 0x3f737871, v26
	v_sub_f32_e32 v1, v7, v3
	v_sub_f32_e32 v30, v11, v17
	v_fmac_f32_e32 v27, 0xbf737871, v26
	v_fmac_f32_e32 v29, 0xbf167918, v24
	v_add_f32_e32 v1, v1, v30
	v_fmac_f32_e32 v27, 0x3f167918, v24
	v_fmac_f32_e32 v29, 0x3e9e377a, v1
	;; [unrolled: 1-line block ×3, first 2 shown]
	v_add_f32_e32 v1, v2, v4
	v_add_f32_e32 v1, v1, v8
	;; [unrolled: 1-line block ×5, first 2 shown]
	v_fma_f32 v26, -0.5, v1, v2
	v_add_f32_e32 v22, v22, v7
	v_sub_f32_e32 v1, v3, v17
	v_mov_b32_e32 v30, v26
	v_add_f32_e32 v22, v22, v11
	v_fmac_f32_e32 v30, 0x3f737871, v1
	v_sub_f32_e32 v3, v7, v11
	v_sub_f32_e32 v7, v4, v8
	;; [unrolled: 1-line block ×3, first 2 shown]
	v_fmac_f32_e32 v26, 0xbf737871, v1
	v_fmac_f32_e32 v30, 0x3f167918, v3
	v_add_f32_e32 v7, v7, v11
	v_fmac_f32_e32 v26, 0xbf167918, v3
	v_fmac_f32_e32 v30, 0x3e9e377a, v7
	;; [unrolled: 1-line block ×3, first 2 shown]
	v_add_f32_e32 v7, v4, v18
	v_fma_f32 v31, -0.5, v7, v2
	v_mov_b32_e32 v32, v31
	v_fmac_f32_e32 v32, 0xbf737871, v3
	v_fmac_f32_e32 v31, 0x3f737871, v3
	;; [unrolled: 1-line block ×4, first 2 shown]
	v_add_f32_e32 v1, v15, v5
	v_mul_f32_e32 v19, v82, v39
	v_add_f32_e32 v1, v1, v9
	v_fmac_f32_e32 v19, v81, v38
	v_add_f32_e32 v1, v1, v20
	v_mul_f32_e32 v21, v82, v38
	v_add_f32_e32 v11, v1, v19
	v_add_f32_e32 v1, v9, v20
	v_fma_f32 v21, v81, v39, -v21
	v_sub_f32_e32 v2, v8, v4
	v_sub_f32_e32 v4, v12, v18
	v_fma_f32 v12, -0.5, v1, v15
	v_add_f32_e32 v2, v2, v4
	v_sub_f32_e32 v1, v6, v21
	v_mov_b32_e32 v4, v12
	v_fmac_f32_e32 v32, 0x3e9e377a, v2
	v_fmac_f32_e32 v31, 0x3e9e377a, v2
	;; [unrolled: 1-line block ×3, first 2 shown]
	v_sub_f32_e32 v2, v10, v16
	v_sub_f32_e32 v3, v5, v9
	;; [unrolled: 1-line block ×3, first 2 shown]
	v_fmac_f32_e32 v12, 0x3f737871, v1
	v_fmac_f32_e32 v4, 0xbf167918, v2
	v_add_f32_e32 v3, v3, v7
	v_fmac_f32_e32 v12, 0x3f167918, v2
	v_fmac_f32_e32 v4, 0x3e9e377a, v3
	;; [unrolled: 1-line block ×3, first 2 shown]
	v_add_f32_e32 v3, v5, v19
	v_fmac_f32_e32 v15, -0.5, v3
	v_mov_b32_e32 v8, v15
	v_fmac_f32_e32 v8, 0x3f737871, v2
	v_fmac_f32_e32 v15, 0xbf737871, v2
	;; [unrolled: 1-line block ×4, first 2 shown]
	v_add_f32_e32 v1, v28, v6
	v_add_f32_e32 v1, v1, v10
	;; [unrolled: 1-line block ×6, first 2 shown]
	v_sub_f32_e32 v3, v9, v5
	v_sub_f32_e32 v7, v20, v19
	v_fma_f32 v17, -0.5, v1, v28
	v_add_f32_e32 v3, v3, v7
	v_sub_f32_e32 v1, v5, v19
	v_mov_b32_e32 v19, v17
	v_fmac_f32_e32 v8, 0x3e9e377a, v3
	v_fmac_f32_e32 v15, 0x3e9e377a, v3
	v_fmac_f32_e32 v19, 0x3f737871, v1
	v_sub_f32_e32 v2, v9, v20
	v_sub_f32_e32 v3, v6, v10
	;; [unrolled: 1-line block ×3, first 2 shown]
	v_fmac_f32_e32 v17, 0xbf737871, v1
	v_fmac_f32_e32 v19, 0x3f167918, v2
	v_add_f32_e32 v3, v3, v5
	v_fmac_f32_e32 v17, 0xbf167918, v2
	v_fmac_f32_e32 v19, 0x3e9e377a, v3
	;; [unrolled: 1-line block ×3, first 2 shown]
	v_add_f32_e32 v3, v6, v21
	v_fmac_f32_e32 v28, -0.5, v3
	v_mov_b32_e32 v20, v28
	v_fmac_f32_e32 v20, 0xbf737871, v2
	v_sub_f32_e32 v3, v10, v6
	v_sub_f32_e32 v5, v16, v21
	v_fmac_f32_e32 v28, 0x3f737871, v2
	v_fmac_f32_e32 v20, 0x3f167918, v1
	v_add_f32_e32 v3, v3, v5
	v_fmac_f32_e32 v28, 0xbf167918, v1
	v_fmac_f32_e32 v20, 0x3e9e377a, v3
	v_fmac_f32_e32 v28, 0x3e9e377a, v3
	v_mul_f32_e32 v16, 0xbf167918, v19
	v_mul_f32_e32 v35, 0x3f4f1bbd, v19
	v_fmac_f32_e32 v16, 0x3f4f1bbd, v4
	v_mul_f32_e32 v21, 0xbf737871, v20
	v_mul_f32_e32 v33, 0xbf737871, v28
	;; [unrolled: 1-line block ×3, first 2 shown]
	v_fmac_f32_e32 v35, 0x3f167918, v4
	v_mul_f32_e32 v20, 0x3e9e377a, v20
	v_mul_f32_e32 v28, 0xbe9e377a, v28
	;; [unrolled: 1-line block ×3, first 2 shown]
	v_add_f32_e32 v1, v22, v11
	v_add_f32_e32 v3, v25, v16
	v_fmac_f32_e32 v21, 0x3e9e377a, v8
	v_fmac_f32_e32 v33, 0xbe9e377a, v15
	v_fmac_f32_e32 v34, 0xbf4f1bbd, v12
	v_add_f32_e32 v2, v24, v18
	v_add_f32_e32 v4, v30, v35
	v_fmac_f32_e32 v20, 0x3f737871, v8
	v_fmac_f32_e32 v28, 0x3f737871, v15
	;; [unrolled: 1-line block ×3, first 2 shown]
	v_add_f32_e32 v5, v29, v21
	v_add_f32_e32 v7, v27, v33
	;; [unrolled: 1-line block ×6, first 2 shown]
	v_sub_f32_e32 v11, v22, v11
	v_sub_f32_e32 v15, v25, v16
	;; [unrolled: 1-line block ×10, first 2 shown]
	ds_write2_b64 v83, v[1:2], v[3:4] offset1:60
	ds_write2_b64 v83, v[5:6], v[7:8] offset0:120 offset1:180
	ds_write2_b64 v40, v[9:10], v[11:12] offset0:112 offset1:172
	;; [unrolled: 1-line block ×4, first 2 shown]
	s_waitcnt lgkmcnt(0)
	; wave barrier
	s_waitcnt lgkmcnt(0)
	ds_read2_b64 v[1:4], v83 offset1:60
	v_mad_u64_u32 v[13:14], s[0:1], s10, v56, 0
	s_mov_b32 s0, 0xb4e81b4f
	s_mov_b32 s1, 0x3f5b4e81
	s_waitcnt lgkmcnt(0)
	v_mul_f32_e32 v6, v76, v2
	v_fmac_f32_e32 v6, v75, v1
	v_cvt_f64_f32_e32 v[6:7], v6
	v_mul_f32_e32 v1, v76, v1
	v_fma_f32 v1, v75, v2, -v1
	v_cvt_f64_f32_e32 v[1:2], v1
	v_mul_f64 v[6:7], v[6:7], s[0:1]
	v_mad_u64_u32 v[8:9], s[4:5], s8, v84, 0
	v_mov_b32_e32 v5, v14
	v_mul_f64 v[1:2], v[1:2], s[0:1]
	v_mad_u64_u32 v[10:11], s[4:5], s11, v56, v[5:6]
	v_mov_b32_e32 v5, v9
	v_mad_u64_u32 v[11:12], s[4:5], s9, v84, v[5:6]
	v_mov_b32_e32 v14, v10
	v_mul_f32_e32 v10, v74, v4
	v_fmac_f32_e32 v10, v73, v3
	v_mov_b32_e32 v9, v11
	v_cvt_f64_f32_e32 v[10:11], v10
	v_cvt_f32_f64_e32 v5, v[6:7]
	v_cvt_f32_f64_e32 v6, v[1:2]
	v_lshlrev_b64 v[1:2], 3, v[13:14]
	v_mul_f32_e32 v3, v74, v3
	v_fma_f32 v3, v73, v4, -v3
	v_mov_b32_e32 v7, s3
	v_cvt_f64_f32_e32 v[3:4], v3
	v_add_co_u32_e32 v12, vcc, s2, v1
	v_addc_co_u32_e32 v13, vcc, v7, v2, vcc
	v_lshlrev_b64 v[1:2], 3, v[8:9]
	v_mul_f64 v[7:8], v[10:11], s[0:1]
	v_add_co_u32_e32 v11, vcc, v12, v1
	v_mul_f64 v[9:10], v[3:4], s[0:1]
	v_addc_co_u32_e32 v12, vcc, v13, v2, vcc
	ds_read2_b64 v[1:4], v83 offset0:120 offset1:180
	global_store_dwordx2 v[11:12], v[5:6], off
	v_cvt_f32_f64_e32 v5, v[7:8]
	s_mul_i32 s2, s9, 0x1e0
	s_mul_hi_u32 s3, s8, 0x1e0
	s_waitcnt lgkmcnt(0)
	v_mul_f32_e32 v7, v70, v2
	v_fmac_f32_e32 v7, v69, v1
	v_mul_f32_e32 v1, v70, v1
	v_fma_f32 v1, v69, v2, -v1
	v_cvt_f64_f32_e32 v[7:8], v7
	v_cvt_f64_f32_e32 v[1:2], v1
	v_cvt_f32_f64_e32 v6, v[9:10]
	s_add_i32 s2, s3, s2
	s_mul_i32 s3, s8, 0x1e0
	v_mov_b32_e32 v10, s2
	v_add_co_u32_e32 v9, vcc, s3, v11
	v_mul_f64 v[7:8], v[7:8], s[0:1]
	v_addc_co_u32_e32 v10, vcc, v12, v10, vcc
	v_mul_f64 v[1:2], v[1:2], s[0:1]
	global_store_dwordx2 v[9:10], v[5:6], off
	v_mul_f32_e32 v6, v66, v4
	v_fmac_f32_e32 v6, v65, v3
	v_mul_f32_e32 v3, v66, v3
	v_fma_f32 v3, v65, v4, -v3
	v_cvt_f64_f32_e32 v[3:4], v3
	v_cvt_f32_f64_e32 v5, v[7:8]
	v_cvt_f64_f32_e32 v[7:8], v6
	v_cvt_f32_f64_e32 v6, v[1:2]
	v_mul_f64 v[11:12], v[3:4], s[0:1]
	ds_read2_b64 v[1:4], v40 offset0:112 offset1:172
	v_mov_b32_e32 v13, s2
	v_add_co_u32_e32 v9, vcc, s3, v9
	v_addc_co_u32_e32 v10, vcc, v10, v13, vcc
	global_store_dwordx2 v[9:10], v[5:6], off
	s_waitcnt lgkmcnt(0)
	v_mul_f32_e32 v5, v64, v2
	v_fmac_f32_e32 v5, v63, v1
	v_cvt_f64_f32_e32 v[5:6], v5
	v_mul_f32_e32 v1, v64, v1
	v_fma_f32 v1, v63, v2, -v1
	v_mul_f64 v[7:8], v[7:8], s[0:1]
	v_mul_f64 v[5:6], v[5:6], s[0:1]
	v_cvt_f64_f32_e32 v[1:2], v1
	v_add_co_u32_e32 v9, vcc, s3, v9
	v_mul_f64 v[1:2], v[1:2], s[0:1]
	v_cvt_f32_f64_e32 v7, v[7:8]
	v_cvt_f32_f64_e32 v5, v[5:6]
	v_mul_f32_e32 v6, v72, v4
	v_fmac_f32_e32 v6, v71, v3
	v_mul_f32_e32 v3, v72, v3
	v_fma_f32 v3, v71, v4, -v3
	v_cvt_f32_f64_e32 v8, v[11:12]
	v_cvt_f64_f32_e32 v[3:4], v3
	v_mov_b32_e32 v11, s2
	v_addc_co_u32_e32 v10, vcc, v10, v11, vcc
	global_store_dwordx2 v[9:10], v[7:8], off
	v_cvt_f64_f32_e32 v[7:8], v6
	v_cvt_f32_f64_e32 v6, v[1:2]
	v_mul_f64 v[11:12], v[3:4], s[0:1]
	ds_read2_b64 v[1:4], v41 offset0:104 offset1:164
	v_add_co_u32_e32 v9, vcc, s3, v9
	v_addc_co_u32_e32 v10, vcc, v10, v13, vcc
	global_store_dwordx2 v[9:10], v[5:6], off
	s_waitcnt lgkmcnt(0)
	v_mul_f32_e32 v5, v68, v2
	v_fmac_f32_e32 v5, v67, v1
	v_cvt_f64_f32_e32 v[5:6], v5
	v_mul_f64 v[7:8], v[7:8], s[0:1]
	v_mul_f32_e32 v1, v68, v1
	v_fma_f32 v1, v67, v2, -v1
	v_mul_f64 v[5:6], v[5:6], s[0:1]
	v_cvt_f64_f32_e32 v[1:2], v1
	v_add_co_u32_e32 v9, vcc, s3, v9
	v_mul_f64 v[1:2], v[1:2], s[0:1]
	v_cvt_f32_f64_e32 v7, v[7:8]
	v_cvt_f32_f64_e32 v8, v[11:12]
	;; [unrolled: 1-line block ×3, first 2 shown]
	v_mul_f32_e32 v6, v62, v4
	v_mov_b32_e32 v11, s2
	v_fmac_f32_e32 v6, v61, v3
	v_mul_f32_e32 v3, v62, v3
	v_addc_co_u32_e32 v10, vcc, v10, v11, vcc
	v_fma_f32 v3, v61, v4, -v3
	global_store_dwordx2 v[9:10], v[7:8], off
	v_cvt_f64_f32_e32 v[7:8], v6
	v_cvt_f64_f32_e32 v[3:4], v3
	v_cvt_f32_f64_e32 v6, v[1:2]
	v_mov_b32_e32 v1, s2
	v_add_co_u32_e32 v9, vcc, s3, v9
	v_mul_f64 v[7:8], v[7:8], s[0:1]
	v_mul_f64 v[11:12], v[3:4], s[0:1]
	v_addc_co_u32_e32 v10, vcc, v10, v1, vcc
	ds_read2_b64 v[0:3], v0 offset0:96 offset1:156
	global_store_dwordx2 v[9:10], v[5:6], off
	v_cvt_f32_f64_e32 v4, v[7:8]
	s_waitcnt lgkmcnt(0)
	v_mul_f32_e32 v6, v58, v1
	v_fmac_f32_e32 v6, v57, v0
	v_mul_f32_e32 v0, v58, v0
	v_fma_f32 v0, v57, v1, -v0
	v_cvt_f32_f64_e32 v5, v[11:12]
	v_cvt_f64_f32_e32 v[6:7], v6
	v_cvt_f64_f32_e32 v[0:1], v0
	v_mov_b32_e32 v11, s2
	v_add_co_u32_e32 v8, vcc, s3, v9
	v_addc_co_u32_e32 v9, vcc, v10, v11, vcc
	global_store_dwordx2 v[8:9], v[4:5], off
	v_mul_f64 v[4:5], v[6:7], s[0:1]
	v_mul_f64 v[0:1], v[0:1], s[0:1]
	v_mul_f32_e32 v6, v60, v3
	v_fmac_f32_e32 v6, v59, v2
	v_mul_f32_e32 v2, v60, v2
	v_fma_f32 v2, v59, v3, -v2
	v_cvt_f64_f32_e32 v[6:7], v6
	v_cvt_f64_f32_e32 v[2:3], v2
	v_cvt_f32_f64_e32 v4, v[4:5]
	v_cvt_f32_f64_e32 v5, v[0:1]
	v_mul_f64 v[0:1], v[6:7], s[0:1]
	v_mul_f64 v[2:3], v[2:3], s[0:1]
	v_mov_b32_e32 v7, s2
	v_add_co_u32_e32 v6, vcc, s3, v8
	v_addc_co_u32_e32 v7, vcc, v9, v7, vcc
	global_store_dwordx2 v[6:7], v[4:5], off
	v_cvt_f32_f64_e32 v0, v[0:1]
	v_cvt_f32_f64_e32 v1, v[2:3]
	v_mov_b32_e32 v3, s2
	v_add_co_u32_e32 v2, vcc, s3, v6
	v_addc_co_u32_e32 v3, vcc, v7, v3, vcc
	global_store_dwordx2 v[2:3], v[0:1], off
.LBB0_10:
	s_endpgm
	.section	.rodata,"a",@progbits
	.p2align	6, 0x0
	.amdhsa_kernel bluestein_single_back_len600_dim1_sp_op_CI_CI
		.amdhsa_group_segment_fixed_size 4800
		.amdhsa_private_segment_fixed_size 0
		.amdhsa_kernarg_size 104
		.amdhsa_user_sgpr_count 6
		.amdhsa_user_sgpr_private_segment_buffer 1
		.amdhsa_user_sgpr_dispatch_ptr 0
		.amdhsa_user_sgpr_queue_ptr 0
		.amdhsa_user_sgpr_kernarg_segment_ptr 1
		.amdhsa_user_sgpr_dispatch_id 0
		.amdhsa_user_sgpr_flat_scratch_init 0
		.amdhsa_user_sgpr_private_segment_size 0
		.amdhsa_uses_dynamic_stack 0
		.amdhsa_system_sgpr_private_segment_wavefront_offset 0
		.amdhsa_system_sgpr_workgroup_id_x 1
		.amdhsa_system_sgpr_workgroup_id_y 0
		.amdhsa_system_sgpr_workgroup_id_z 0
		.amdhsa_system_sgpr_workgroup_info 0
		.amdhsa_system_vgpr_workitem_id 0
		.amdhsa_next_free_vgpr 113
		.amdhsa_next_free_sgpr 20
		.amdhsa_reserve_vcc 1
		.amdhsa_reserve_flat_scratch 0
		.amdhsa_float_round_mode_32 0
		.amdhsa_float_round_mode_16_64 0
		.amdhsa_float_denorm_mode_32 3
		.amdhsa_float_denorm_mode_16_64 3
		.amdhsa_dx10_clamp 1
		.amdhsa_ieee_mode 1
		.amdhsa_fp16_overflow 0
		.amdhsa_exception_fp_ieee_invalid_op 0
		.amdhsa_exception_fp_denorm_src 0
		.amdhsa_exception_fp_ieee_div_zero 0
		.amdhsa_exception_fp_ieee_overflow 0
		.amdhsa_exception_fp_ieee_underflow 0
		.amdhsa_exception_fp_ieee_inexact 0
		.amdhsa_exception_int_div_zero 0
	.end_amdhsa_kernel
	.text
.Lfunc_end0:
	.size	bluestein_single_back_len600_dim1_sp_op_CI_CI, .Lfunc_end0-bluestein_single_back_len600_dim1_sp_op_CI_CI
                                        ; -- End function
	.section	.AMDGPU.csdata,"",@progbits
; Kernel info:
; codeLenInByte = 8672
; NumSgprs: 24
; NumVgprs: 113
; ScratchSize: 0
; MemoryBound: 0
; FloatMode: 240
; IeeeMode: 1
; LDSByteSize: 4800 bytes/workgroup (compile time only)
; SGPRBlocks: 2
; VGPRBlocks: 28
; NumSGPRsForWavesPerEU: 24
; NumVGPRsForWavesPerEU: 113
; Occupancy: 2
; WaveLimiterHint : 1
; COMPUTE_PGM_RSRC2:SCRATCH_EN: 0
; COMPUTE_PGM_RSRC2:USER_SGPR: 6
; COMPUTE_PGM_RSRC2:TRAP_HANDLER: 0
; COMPUTE_PGM_RSRC2:TGID_X_EN: 1
; COMPUTE_PGM_RSRC2:TGID_Y_EN: 0
; COMPUTE_PGM_RSRC2:TGID_Z_EN: 0
; COMPUTE_PGM_RSRC2:TIDIG_COMP_CNT: 0
	.type	__hip_cuid_e17e80dc46e7cc30,@object ; @__hip_cuid_e17e80dc46e7cc30
	.section	.bss,"aw",@nobits
	.globl	__hip_cuid_e17e80dc46e7cc30
__hip_cuid_e17e80dc46e7cc30:
	.byte	0                               ; 0x0
	.size	__hip_cuid_e17e80dc46e7cc30, 1

	.ident	"AMD clang version 19.0.0git (https://github.com/RadeonOpenCompute/llvm-project roc-6.4.0 25133 c7fe45cf4b819c5991fe208aaa96edf142730f1d)"
	.section	".note.GNU-stack","",@progbits
	.addrsig
	.addrsig_sym __hip_cuid_e17e80dc46e7cc30
	.amdgpu_metadata
---
amdhsa.kernels:
  - .args:
      - .actual_access:  read_only
        .address_space:  global
        .offset:         0
        .size:           8
        .value_kind:     global_buffer
      - .actual_access:  read_only
        .address_space:  global
        .offset:         8
        .size:           8
        .value_kind:     global_buffer
      - .actual_access:  read_only
        .address_space:  global
        .offset:         16
        .size:           8
        .value_kind:     global_buffer
      - .actual_access:  read_only
        .address_space:  global
        .offset:         24
        .size:           8
        .value_kind:     global_buffer
      - .actual_access:  read_only
        .address_space:  global
        .offset:         32
        .size:           8
        .value_kind:     global_buffer
      - .offset:         40
        .size:           8
        .value_kind:     by_value
      - .address_space:  global
        .offset:         48
        .size:           8
        .value_kind:     global_buffer
      - .address_space:  global
        .offset:         56
        .size:           8
        .value_kind:     global_buffer
      - .address_space:  global
        .offset:         64
        .size:           8
        .value_kind:     global_buffer
      - .address_space:  global
        .offset:         72
        .size:           8
        .value_kind:     global_buffer
      - .offset:         80
        .size:           4
        .value_kind:     by_value
      - .address_space:  global
        .offset:         88
        .size:           8
        .value_kind:     global_buffer
      - .address_space:  global
        .offset:         96
        .size:           8
        .value_kind:     global_buffer
    .group_segment_fixed_size: 4800
    .kernarg_segment_align: 8
    .kernarg_segment_size: 104
    .language:       OpenCL C
    .language_version:
      - 2
      - 0
    .max_flat_workgroup_size: 60
    .name:           bluestein_single_back_len600_dim1_sp_op_CI_CI
    .private_segment_fixed_size: 0
    .sgpr_count:     24
    .sgpr_spill_count: 0
    .symbol:         bluestein_single_back_len600_dim1_sp_op_CI_CI.kd
    .uniform_work_group_size: 1
    .uses_dynamic_stack: false
    .vgpr_count:     113
    .vgpr_spill_count: 0
    .wavefront_size: 64
amdhsa.target:   amdgcn-amd-amdhsa--gfx906
amdhsa.version:
  - 1
  - 2
...

	.end_amdgpu_metadata
